;; amdgpu-corpus repo=zjin-lcf/HeCBench kind=compiled arch=gfx1250 opt=O3
	.amdgcn_target "amdgcn-amd-amdhsa--gfx1250"
	.amdhsa_code_object_version 6
	.text
	.protected	_Z7kernel1PiPKiiiiii    ; -- Begin function _Z7kernel1PiPKiiiiii
	.globl	_Z7kernel1PiPKiiiiii
	.p2align	8
	.type	_Z7kernel1PiPKiiiiii,@function
_Z7kernel1PiPKiiiiii:                   ; @_Z7kernel1PiPKiiiiii
; %bb.0:
	s_load_b256 s[16:23], s[0:1], 0x0
	s_bfe_u32 s2, ttmp6, 0x4000c
	s_and_b32 s3, ttmp6, 15
	s_add_co_i32 s2, s2, 1
	s_getreg_b32 s4, hwreg(HW_REG_IB_STS2, 6, 4)
	s_mul_i32 s2, ttmp9, s2
	s_load_b32 s33, s[0:1], 0x20
	s_add_co_i32 s3, s3, s2
	s_cmp_eq_u32 s4, 0
	v_cmp_eq_u32_e32 vcc_lo, 0, v0
	s_cselect_b32 s2, ttmp9, s3
	s_delay_alu instid0(SALU_CYCLE_1)
	s_not_b32 s3, s2
	s_wait_xcnt 0x0
	s_lshl_b32 s1, s2, 4
	s_wait_kmcnt 0x0
	s_add_co_i32 s3, s23, s3
	s_add_co_i32 s1, s21, s1
	s_lshl_b32 s3, s3, 4
	s_delay_alu instid0(SALU_CYCLE_1) | instskip(NEXT) | instid1(SALU_CYCLE_1)
	s_add_co_i32 s0, s3, s20
	s_mul_i32 s0, s0, s22
	s_delay_alu instid0(SALU_CYCLE_1) | instskip(NEXT) | instid1(SALU_CYCLE_1)
	s_add_co_i32 s0, s1, s0
	v_add_nc_u32_e32 v4, s0, v0
	s_delay_alu instid0(VALU_DEP_1) | instskip(NEXT) | instid1(VALU_DEP_1)
	v_ashrrev_i32_e32 v5, 31, v4
	v_lshl_add_u64 v[2:3], v[4:5], 2, s[16:17]
	s_and_saveexec_b32 s1, vcc_lo
	s_cbranch_execz .LBB0_2
; %bb.1:
	global_load_b32 v1, v[2:3], off
	v_mov_b32_e32 v6, 0
	s_wait_loadcnt 0x0
	ds_store_b32 v6, v1
.LBB0_2:
	s_or_b32 exec_lo, exec_lo, s1
	s_ashr_i32 s23, s22, 31
	v_add_nc_u32_e32 v30, 1, v0
	v_add_nc_u64_e32 v[4:5], s[22:23], v[4:5]
	s_lshl_b32 s14, s22, 1
	s_mul_i32 s20, s22, 3
	s_lshl_b32 s24, s22, 2
	v_mad_u32 v1, s22, v30, s0
	s_ashr_i32 s15, s14, 31
	s_mul_i32 s26, s22, 5
	v_lshl_add_u64 v[6:7], v[4:5], 2, s[18:19]
	s_ashr_i32 s21, s20, 31
	s_mul_i32 s18, s22, 6
	s_mul_i32 s28, s22, 7
	s_lshl_b32 s30, s22, 3
	v_lshl_add_u64 v[8:9], s[22:23], 2, v[6:7]
	s_ashr_i32 s25, s24, 31
	v_lshl_add_u64 v[10:11], s[14:15], 2, v[6:7]
	s_mul_i32 s34, s22, 9
	s_ashr_i32 s27, s26, 31
	v_lshl_add_u64 v[12:13], s[20:21], 2, v[6:7]
	s_ashr_i32 s19, s18, 31
	s_ashr_i32 s29, s28, 31
	;; [unrolled: 1-line block ×3, first 2 shown]
	s_mul_i32 s36, s22, 10
	v_lshl_add_u64 v[14:15], s[24:25], 2, v[6:7]
	s_ashr_i32 s35, s34, 31
	s_mul_i32 s38, s22, 11
	s_mul_i32 s40, s22, 12
	;; [unrolled: 1-line block ×5, first 2 shown]
	v_lshl_add_u64 v[16:17], s[26:27], 2, v[6:7]
	v_lshl_add_u64 v[18:19], s[18:19], 2, v[6:7]
	;; [unrolled: 1-line block ×3, first 2 shown]
	s_clause 0x7
	global_load_b32 v22, v[6:7], off offset:4
	global_load_b32 v23, v[8:9], off offset:4
	;; [unrolled: 1-line block ×8, first 2 shown]
	s_wait_xcnt 0x6
	v_lshl_add_u64 v[8:9], s[30:31], 2, v[6:7]
	s_ashr_i32 s37, s36, 31
	s_wait_xcnt 0x5
	v_lshl_add_u64 v[10:11], s[34:35], 2, v[6:7]
	s_ashr_i32 s39, s38, 31
	s_ashr_i32 s41, s40, 31
	;; [unrolled: 1-line block ×5, first 2 shown]
	s_wait_xcnt 0x4
	v_lshl_add_u64 v[12:13], s[36:37], 2, v[6:7]
	s_wait_xcnt 0x3
	v_lshl_add_u64 v[14:15], s[38:39], 2, v[6:7]
	;; [unrolled: 2-line block ×5, first 2 shown]
	v_lshl_add_u64 v[6:7], s[46:47], 2, v[6:7]
	s_clause 0x1
	global_load_b32 v31, v1, s[16:17] scale_offset
	global_load_b32 v32, v[2:3], off offset:4
	s_clause 0x7
	global_load_b32 v33, v[8:9], off offset:4
	global_load_b32 v34, v[10:11], off offset:4
	;; [unrolled: 1-line block ×8, first 2 shown]
	s_wait_xcnt 0x9
	v_lshlrev_b32_e32 v1, 2, v0
	s_wait_xcnt 0x0
	v_mul_u32_u24_e32 v7, 0x44, v30
	s_delay_alu instid0(VALU_DEP_2)
	v_add_nc_u32_e32 v6, 0x490, v1
	v_add_nc_u32_e32 v8, 0x400, v1
	;; [unrolled: 1-line block ×3, first 2 shown]
	s_wait_loadcnt 0x9
	ds_store_b32 v7, v31
	s_wait_loadcnt 0x8
	ds_store_b32 v1, v32 offset:4
	ds_store_2addr_b32 v8, v22, v23 offset0:36 offset1:52
	ds_store_2addr_b32 v8, v24, v25 offset0:68 offset1:84
	;; [unrolled: 1-line block ×4, first 2 shown]
	s_wait_loadcnt 0x6
	ds_store_2addr_b32 v8, v33, v34 offset0:164 offset1:180
	s_wait_loadcnt 0x4
	ds_store_2addr_b32 v8, v35, v36 offset0:196 offset1:212
	;; [unrolled: 2-line block ×4, first 2 shown]
	s_wait_dscnt 0x0
	s_barrier_signal -1
	s_barrier_wait -1
	s_and_saveexec_b32 s0, vcc_lo
	s_cbranch_execz .LBB0_4
; %bb.3:
	ds_load_2addr_b32 v[8:9], v1 offset1:1
	ds_load_b32 v7, v1 offset:68
	ds_load_b32 v10, v6
	s_wait_dscnt 0x2
	v_subrev_nc_u32_e32 v9, s33, v9
	s_wait_dscnt 0x1
	v_subrev_nc_u32_e32 v7, s33, v7
	s_wait_dscnt 0x0
	v_add_nc_u32_e32 v8, v10, v8
	s_delay_alu instid0(VALU_DEP_1)
	v_max3_i32 v7, v8, v7, v9
	ds_store_b32 v1, v7 offset:72
.LBB0_4:
	s_or_b32 exec_lo, exec_lo, s0
	v_cmp_gt_u32_e64 s0, 2, v0
	s_wait_dscnt 0x0
	s_barrier_signal -1
	s_barrier_wait -1
	s_and_saveexec_b32 s1, s0
	s_cbranch_execz .LBB0_6
; %bb.5:
	v_sub_nc_u32_e32 v7, 1, v0
	s_delay_alu instid0(VALU_DEP_1) | instskip(SKIP_1) | instid1(VALU_DEP_2)
	v_mul_u32_u24_e32 v8, 17, v7
	v_lshl_add_u32 v7, v7, 6, v6
	v_lshl_add_u32 v10, v8, 2, v1
	ds_load_b32 v7, v7
	ds_load_2addr_b32 v[8:9], v10 offset1:1
	ds_load_b32 v11, v10 offset:68
	s_wait_dscnt 0x1
	v_add_nc_u32_e32 v7, v7, v8
	s_wait_dscnt 0x0
	v_subrev_nc_u32_e32 v8, s33, v11
	v_subrev_nc_u32_e32 v9, s33, v9
	s_delay_alu instid0(VALU_DEP_1)
	v_max3_i32 v7, v7, v8, v9
	ds_store_b32 v10, v7 offset:72
.LBB0_6:
	s_or_b32 exec_lo, exec_lo, s1
	v_cmp_gt_u32_e64 s1, 3, v0
	s_wait_dscnt 0x0
	s_barrier_signal -1
	s_barrier_wait -1
	s_and_saveexec_b32 s2, s1
	s_cbranch_execz .LBB0_8
; %bb.7:
	v_sub_nc_u32_e32 v7, 2, v0
	s_delay_alu instid0(VALU_DEP_1) | instskip(SKIP_1) | instid1(VALU_DEP_2)
	v_mul_u32_u24_e32 v8, 17, v7
	v_lshl_add_u32 v7, v7, 6, v6
	v_lshl_add_u32 v10, v8, 2, v1
	ds_load_b32 v7, v7
	ds_load_2addr_b32 v[8:9], v10 offset1:1
	ds_load_b32 v11, v10 offset:68
	s_wait_dscnt 0x1
	v_add_nc_u32_e32 v7, v7, v8
	s_wait_dscnt 0x0
	v_subrev_nc_u32_e32 v8, s33, v11
	v_subrev_nc_u32_e32 v9, s33, v9
	s_delay_alu instid0(VALU_DEP_1)
	v_max3_i32 v7, v7, v8, v9
	ds_store_b32 v10, v7 offset:72
.LBB0_8:
	;; [unrolled: 25-line block ×14, first 2 shown]
	s_or_b32 exec_lo, exec_lo, s48
	v_sub_co_u32 v9, s48, 15, v0
	s_xor_b32 s48, s48, -1
	s_wait_dscnt 0x0
	s_barrier_signal -1
	v_mul_i32_i24_e32 v7, 17, v9
	v_lshlrev_b32_e32 v8, 6, v9
	s_barrier_wait -1
	s_and_saveexec_b32 s49, s48
	s_delay_alu instid0(SALU_CYCLE_1)
	s_xor_b32 s48, exec_lo, s49
	s_cbranch_execz .LBB0_34
; %bb.33:
	v_lshlrev_b32_e32 v8, 6, v9
	v_lshl_add_u32 v9, v7, 2, v1
	s_delay_alu instid0(VALU_DEP_2)
	v_add_nc_u32_e32 v6, v6, v8
	ds_load_2addr_b32 v[10:11], v9 offset1:1
	ds_load_b32 v6, v6
	ds_load_b32 v12, v9 offset:68
	s_wait_dscnt 0x2
	v_subrev_nc_u32_e32 v11, s33, v11
	s_wait_dscnt 0x1
	v_add_nc_u32_e32 v6, v6, v10
	s_wait_dscnt 0x0
	v_subrev_nc_u32_e32 v10, s33, v12
	s_delay_alu instid0(VALU_DEP_1)
	v_max3_i32 v6, v6, v10, v11
	ds_store_b32 v9, v6 offset:72
.LBB0_34:
	s_and_not1_saveexec_b32 s48, s48
	s_delay_alu instid0(SALU_CYCLE_1) | instskip(SKIP_4) | instid1(VALU_DEP_2)
	s_or_b32 exec_lo, exec_lo, s48
	v_dual_sub_nc_u32 v0, 16, v0 :: v_dual_lshlrev_b32 v6, 2, v7
	v_add_nc_u32_e32 v7, 0x490, v8
	s_wait_dscnt 0x0
	s_barrier_signal -1
	v_mul_i32_i24_e32 v0, 0x44, v0
	s_barrier_wait -1
	s_and_saveexec_b32 s48, s13
	s_cbranch_execz .LBB0_36
; %bb.35:
	v_dual_add_nc_u32 v8, v6, v1 :: v_dual_add_nc_u32 v10, v7, v1
	v_add_nc_u32_e32 v11, v0, v1
	ds_load_2addr_b32 v[8:9], v8 offset0:1 offset1:2
	ds_load_b32 v10, v10 offset:4
	ds_load_b32 v12, v11 offset:4
	s_wait_dscnt 0x2
	v_subrev_nc_u32_e32 v9, s33, v9
	s_wait_dscnt 0x1
	v_add_nc_u32_e32 v8, v10, v8
	s_wait_dscnt 0x0
	v_subrev_nc_u32_e32 v10, s33, v12
	s_delay_alu instid0(VALU_DEP_1)
	v_max3_i32 v8, v8, v10, v9
	ds_store_b32 v11, v8 offset:8
.LBB0_36:
	s_or_b32 exec_lo, exec_lo, s48
	s_wait_dscnt 0x0
	s_barrier_signal -1
	s_barrier_wait -1
	s_and_saveexec_b32 s13, s12
	s_cbranch_execz .LBB0_38
; %bb.37:
	v_dual_add_nc_u32 v8, v6, v1 :: v_dual_add_nc_u32 v10, v7, v1
	v_add_nc_u32_e32 v11, v0, v1
	ds_load_2addr_b32 v[8:9], v8 offset0:2 offset1:3
	ds_load_b32 v10, v10 offset:8
	ds_load_b32 v12, v11 offset:8
	s_wait_dscnt 0x2
	v_subrev_nc_u32_e32 v9, s33, v9
	s_wait_dscnt 0x1
	v_add_nc_u32_e32 v8, v10, v8
	s_wait_dscnt 0x0
	v_subrev_nc_u32_e32 v10, s33, v12
	s_delay_alu instid0(VALU_DEP_1)
	v_max3_i32 v8, v8, v10, v9
	ds_store_b32 v11, v8 offset:12
.LBB0_38:
	s_or_b32 exec_lo, exec_lo, s13
	s_wait_dscnt 0x0
	s_barrier_signal -1
	;; [unrolled: 22-line block ×14, first 2 shown]
	s_barrier_wait -1
	s_and_saveexec_b32 s0, vcc_lo
	s_cbranch_execz .LBB0_64
; %bb.63:
	ds_load_2addr_b32 v[8:9], v6 offset0:15 offset1:16
	ds_load_b32 v6, v7 offset:60
	ds_load_b32 v7, v0 offset:60
	s_wait_dscnt 0x1
	v_add_nc_u32_e32 v6, v6, v8
	s_wait_dscnt 0x0
	v_subrev_nc_u32_e32 v7, s33, v7
	v_subrev_nc_u32_e32 v8, s33, v9
	s_delay_alu instid0(VALU_DEP_1)
	v_max3_i32 v6, v6, v7, v8
	ds_store_b32 v0, v6 offset:64
.LBB0_64:
	s_or_b32 exec_lo, exec_lo, s0
	s_wait_dscnt 0x0
	s_barrier_signal -1
	s_barrier_wait -1
	ds_load_2addr_b32 v[6:7], v1 offset0:18 offset1:35
	ds_load_2addr_b32 v[20:21], v1 offset0:52 offset1:69
	s_lshl_b64 s[0:1], s[22:23], 2
	ds_load_2addr_b32 v[28:29], v1 offset0:86 offset1:103
	v_add_nc_u64_e32 v[2:3], s[0:1], v[2:3]
	v_add_nc_u64_e32 v[8:9], s[14:15], v[4:5]
	;; [unrolled: 1-line block ×4, first 2 shown]
	ds_load_2addr_b32 v[40:41], v1 offset0:154 offset1:171
	v_add_nc_u64_e32 v[14:15], s[26:27], v[4:5]
	v_add_nc_u64_e32 v[16:17], s[18:19], v[4:5]
	v_add_nc_u64_e32 v[36:37], s[0:1], v[2:3]
	v_lshl_add_u64 v[8:9], v[8:9], 2, s[16:17]
	v_lshl_add_u64 v[10:11], v[10:11], 2, s[16:17]
	v_add_nc_u64_e32 v[18:19], s[28:29], v[4:5]
	v_add_nc_u64_e32 v[22:23], s[30:31], v[4:5]
	;; [unrolled: 1-line block ×6, first 2 shown]
	s_wait_dscnt 0x3
	global_store_b32 v[2:3], v6, off offset:4
	s_wait_xcnt 0x0
	ds_load_2addr_b32 v[2:3], v1 offset0:120 offset1:137
	global_store_b32 v[36:37], v7, off offset:4
	s_wait_dscnt 0x3
	global_store_b32 v[8:9], v20, off offset:4
	s_wait_xcnt 0x0
	v_lshl_add_u64 v[8:9], v[12:13], 2, s[16:17]
	v_add_nc_u32_e32 v20, 0x400, v1
	ds_load_2addr_b32 v[6:7], v1 offset0:188 offset1:205
	ds_load_2addr_b32 v[0:1], v1 offset0:222 offset1:239
	global_store_b32 v[10:11], v21, off offset:4
	s_wait_dscnt 0x4
	global_store_b32 v[8:9], v28, off offset:4
	s_wait_xcnt 0x0
	ds_load_2addr_b32 v[8:9], v20 offset1:17
	v_lshl_add_u64 v[12:13], v[14:15], 2, s[16:17]
	v_add_nc_u64_e32 v[34:35], s[42:43], v[4:5]
	v_lshl_add_u64 v[10:11], v[16:17], 2, s[16:17]
	v_add_nc_u64_e32 v[38:39], s[44:45], v[4:5]
	v_add_nc_u64_e32 v[4:5], s[46:47], v[4:5]
	global_store_b32 v[12:13], v29, off offset:4
	s_wait_xcnt 0x0
	v_lshl_add_u64 v[12:13], v[18:19], 2, s[16:17]
	v_lshl_add_u64 v[14:15], v[22:23], 2, s[16:17]
	;; [unrolled: 1-line block ×4, first 2 shown]
	s_wait_dscnt 0x3
	s_clause 0x3
	global_store_b32 v[10:11], v2, off offset:4
	global_store_b32 v[12:13], v3, off offset:4
	;; [unrolled: 1-line block ×4, first 2 shown]
	s_wait_dscnt 0x2
	global_store_b32 v[18:19], v6, off offset:4
	s_wait_xcnt 0x3
	v_lshl_add_u64 v[2:3], v[30:31], 2, s[16:17]
	v_lshl_add_u64 v[10:11], v[32:33], 2, s[16:17]
	;; [unrolled: 1-line block ×3, first 2 shown]
	s_wait_xcnt 0x2
	v_lshl_add_u64 v[14:15], v[38:39], 2, s[16:17]
	v_lshl_add_u64 v[4:5], v[4:5], 2, s[16:17]
	global_store_b32 v[2:3], v7, off offset:4
	s_wait_dscnt 0x1
	s_clause 0x1
	global_store_b32 v[10:11], v0, off offset:4
	global_store_b32 v[12:13], v1, off offset:4
	s_wait_dscnt 0x0
	s_clause 0x1
	global_store_b32 v[14:15], v8, off offset:4
	global_store_b32 v[4:5], v9, off offset:4
	s_endpgm
	.section	.rodata,"a",@progbits
	.p2align	6, 0x0
	.amdhsa_kernel _Z7kernel1PiPKiiiiii
		.amdhsa_group_segment_fixed_size 2192
		.amdhsa_private_segment_fixed_size 0
		.amdhsa_kernarg_size 36
		.amdhsa_user_sgpr_count 2
		.amdhsa_user_sgpr_dispatch_ptr 0
		.amdhsa_user_sgpr_queue_ptr 0
		.amdhsa_user_sgpr_kernarg_segment_ptr 1
		.amdhsa_user_sgpr_dispatch_id 0
		.amdhsa_user_sgpr_kernarg_preload_length 0
		.amdhsa_user_sgpr_kernarg_preload_offset 0
		.amdhsa_user_sgpr_private_segment_size 0
		.amdhsa_wavefront_size32 1
		.amdhsa_uses_dynamic_stack 0
		.amdhsa_enable_private_segment 0
		.amdhsa_system_sgpr_workgroup_id_x 1
		.amdhsa_system_sgpr_workgroup_id_y 0
		.amdhsa_system_sgpr_workgroup_id_z 0
		.amdhsa_system_sgpr_workgroup_info 0
		.amdhsa_system_vgpr_workitem_id 0
		.amdhsa_next_free_vgpr 42
		.amdhsa_next_free_sgpr 50
		.amdhsa_named_barrier_count 0
		.amdhsa_reserve_vcc 1
		.amdhsa_float_round_mode_32 0
		.amdhsa_float_round_mode_16_64 0
		.amdhsa_float_denorm_mode_32 3
		.amdhsa_float_denorm_mode_16_64 3
		.amdhsa_fp16_overflow 0
		.amdhsa_memory_ordered 1
		.amdhsa_forward_progress 1
		.amdhsa_inst_pref_size 39
		.amdhsa_round_robin_scheduling 0
		.amdhsa_exception_fp_ieee_invalid_op 0
		.amdhsa_exception_fp_denorm_src 0
		.amdhsa_exception_fp_ieee_div_zero 0
		.amdhsa_exception_fp_ieee_overflow 0
		.amdhsa_exception_fp_ieee_underflow 0
		.amdhsa_exception_fp_ieee_inexact 0
		.amdhsa_exception_int_div_zero 0
	.end_amdhsa_kernel
	.text
.Lfunc_end0:
	.size	_Z7kernel1PiPKiiiiii, .Lfunc_end0-_Z7kernel1PiPKiiiiii
                                        ; -- End function
	.set _Z7kernel1PiPKiiiiii.num_vgpr, 42
	.set _Z7kernel1PiPKiiiiii.num_agpr, 0
	.set _Z7kernel1PiPKiiiiii.numbered_sgpr, 50
	.set _Z7kernel1PiPKiiiiii.num_named_barrier, 0
	.set _Z7kernel1PiPKiiiiii.private_seg_size, 0
	.set _Z7kernel1PiPKiiiiii.uses_vcc, 1
	.set _Z7kernel1PiPKiiiiii.uses_flat_scratch, 0
	.set _Z7kernel1PiPKiiiiii.has_dyn_sized_stack, 0
	.set _Z7kernel1PiPKiiiiii.has_recursion, 0
	.set _Z7kernel1PiPKiiiiii.has_indirect_call, 0
	.section	.AMDGPU.csdata,"",@progbits
; Kernel info:
; codeLenInByte = 4964
; TotalNumSgprs: 52
; NumVgprs: 42
; ScratchSize: 0
; MemoryBound: 0
; FloatMode: 240
; IeeeMode: 1
; LDSByteSize: 2192 bytes/workgroup (compile time only)
; SGPRBlocks: 0
; VGPRBlocks: 2
; NumSGPRsForWavesPerEU: 52
; NumVGPRsForWavesPerEU: 42
; NamedBarCnt: 0
; Occupancy: 16
; WaveLimiterHint : 0
; COMPUTE_PGM_RSRC2:SCRATCH_EN: 0
; COMPUTE_PGM_RSRC2:USER_SGPR: 2
; COMPUTE_PGM_RSRC2:TRAP_HANDLER: 0
; COMPUTE_PGM_RSRC2:TGID_X_EN: 1
; COMPUTE_PGM_RSRC2:TGID_Y_EN: 0
; COMPUTE_PGM_RSRC2:TGID_Z_EN: 0
; COMPUTE_PGM_RSRC2:TIDIG_COMP_CNT: 0
	.text
	.protected	_Z7kernel2PiPKiiiiiii   ; -- Begin function _Z7kernel2PiPKiiiiiii
	.globl	_Z7kernel2PiPKiiiiiii
	.p2align	8
	.type	_Z7kernel2PiPKiiiiiii,@function
_Z7kernel2PiPKiiiiiii:                  ; @_Z7kernel2PiPKiiiiiii
; %bb.0:
	s_clause 0x1
	s_load_b256 s[16:23], s[0:1], 0x0
	s_load_b64 s[24:25], s[0:1], 0x20
	s_wait_xcnt 0x0
	s_bfe_u32 s0, ttmp6, 0x4000c
	s_and_b32 s1, ttmp6, 15
	s_add_co_i32 s0, s0, 1
	s_getreg_b32 s2, hwreg(HW_REG_IB_STS2, 6, 4)
	s_mul_i32 s0, ttmp9, s0
	v_cmp_eq_u32_e32 vcc_lo, 0, v0
	s_add_co_i32 s1, s1, s0
	s_cmp_eq_u32 s2, 0
	s_cselect_b32 s0, ttmp9, s1
	s_delay_alu instid0(SALU_CYCLE_1)
	s_not_b32 s1, s0
	s_wait_kmcnt 0x0
	s_add_co_i32 s1, s20, s1
	s_add_co_i32 s0, s20, s0
	s_lshl_b32 s1, s1, 4
	s_sub_co_i32 s0, s0, s24
	s_add_co_i32 s1, s1, s21
	s_lshl_b32 s0, s0, 4
	s_mul_i32 s1, s1, s23
	s_add_co_i32 s0, s0, s22
	s_mov_b32 s14, s23
	s_add_co_i32 s0, s0, s1
	s_and_saveexec_b32 s2, vcc_lo
	s_cbranch_execz .LBB1_2
; %bb.1:
	s_ashr_i32 s1, s0, 31
	s_delay_alu instid0(SALU_CYCLE_1) | instskip(NEXT) | instid1(SALU_CYCLE_1)
	s_lshl_b64 s[4:5], s[0:1], 2
	s_add_nc_u64 s[4:5], s[16:17], s[4:5]
	s_load_b32 s1, s[4:5], 0x0
	s_wait_kmcnt 0x0
	v_dual_mov_b32 v1, 0 :: v_dual_mov_b32 v2, s1
	ds_store_b32 v1, v2
.LBB1_2:
	s_or_b32 exec_lo, exec_lo, s2
	v_dual_add_nc_u32 v4, s0, v0 :: v_dual_add_nc_u32 v1, 1, v0
	s_ashr_i32 s15, s23, 31
	s_lshl_b32 s20, s23, 1
	s_mul_i32 s26, s23, 3
	s_delay_alu instid0(VALU_DEP_1)
	v_ashrrev_i32_e32 v5, 31, v4
	v_mad_u32 v30, s23, v1, s0
	s_lshl_b32 s28, s23, 2
	s_ashr_i32 s21, s20, 31
	s_mul_i32 s30, s23, 5
	v_add_nc_u64_e32 v[2:3], s[14:15], v[4:5]
	s_mul_i32 s34, s23, 6
	s_mul_i32 s36, s23, 7
	s_ashr_i32 s27, s26, 31
	s_ashr_i32 s29, s28, 31
	s_mul_i32 s38, s23, 9
	s_ashr_i32 s31, s30, 31
	v_lshl_add_u64 v[6:7], v[2:3], 2, s[18:19]
	s_lshl_b32 s18, s23, 3
	s_ashr_i32 s35, s34, 31
	s_ashr_i32 s37, s36, 31
	;; [unrolled: 1-line block ×3, first 2 shown]
	v_lshl_add_u64 v[8:9], s[14:15], 2, v[6:7]
	v_lshl_add_u64 v[10:11], s[20:21], 2, v[6:7]
	;; [unrolled: 1-line block ×3, first 2 shown]
	s_mul_i32 s40, s23, 10
	v_lshl_add_u64 v[14:15], s[28:29], 2, v[6:7]
	s_ashr_i32 s39, s38, 31
	s_mul_i32 s42, s23, 11
	s_mul_i32 s44, s23, 12
	;; [unrolled: 1-line block ×5, first 2 shown]
	v_lshl_add_u64 v[16:17], s[30:31], 2, v[6:7]
	v_lshl_add_u64 v[18:19], s[34:35], 2, v[6:7]
	v_lshl_add_u64 v[20:21], s[36:37], 2, v[6:7]
	s_clause 0x7
	global_load_b32 v22, v[6:7], off offset:4
	global_load_b32 v23, v[8:9], off offset:4
	;; [unrolled: 1-line block ×8, first 2 shown]
	s_wait_xcnt 0x6
	v_lshl_add_u64 v[8:9], s[18:19], 2, v[6:7]
	s_ashr_i32 s41, s40, 31
	s_wait_xcnt 0x5
	v_lshl_add_u64 v[10:11], s[38:39], 2, v[6:7]
	s_ashr_i32 s43, s42, 31
	s_ashr_i32 s45, s44, 31
	;; [unrolled: 1-line block ×5, first 2 shown]
	s_wait_xcnt 0x4
	v_lshl_add_u64 v[12:13], s[40:41], 2, v[6:7]
	s_wait_xcnt 0x3
	v_lshl_add_u64 v[14:15], s[42:43], 2, v[6:7]
	;; [unrolled: 2-line block ×5, first 2 shown]
	v_lshl_add_u64 v[6:7], s[48:49], 2, v[6:7]
	s_clause 0x1
	global_load_b32 v31, v30, s[16:17] scale_offset
	global_load_b32 v32, v4, s[16:17] offset:4 scale_offset
	s_clause 0x7
	global_load_b32 v33, v[8:9], off offset:4
	global_load_b32 v34, v[10:11], off offset:4
	global_load_b32 v35, v[12:13], off offset:4
	global_load_b32 v36, v[14:15], off offset:4
	global_load_b32 v37, v[16:17], off offset:4
	global_load_b32 v38, v[18:19], off offset:4
	global_load_b32 v39, v[20:21], off offset:4
	global_load_b32 v40, v[6:7], off offset:4
	s_wait_xcnt 0x0
	v_lshlrev_b32_e32 v6, 2, v0
	v_mul_u32_u24_e32 v7, 0x44, v1
	s_delay_alu instid0(VALU_DEP_2)
	v_add_nc_u32_e32 v1, 0x490, v6
	v_add_nc_u32_e32 v8, 0x400, v6
	;; [unrolled: 1-line block ×3, first 2 shown]
	s_wait_loadcnt 0x9
	ds_store_b32 v7, v31
	s_wait_loadcnt 0x8
	ds_store_b32 v6, v32 offset:4
	ds_store_2addr_b32 v8, v22, v23 offset0:36 offset1:52
	ds_store_2addr_b32 v8, v24, v25 offset0:68 offset1:84
	;; [unrolled: 1-line block ×4, first 2 shown]
	s_wait_loadcnt 0x6
	ds_store_2addr_b32 v8, v33, v34 offset0:164 offset1:180
	s_wait_loadcnt 0x4
	ds_store_2addr_b32 v8, v35, v36 offset0:196 offset1:212
	;; [unrolled: 2-line block ×4, first 2 shown]
	s_wait_dscnt 0x0
	s_barrier_signal -1
	s_barrier_wait -1
	s_and_saveexec_b32 s0, vcc_lo
	s_cbranch_execz .LBB1_4
; %bb.3:
	ds_load_2addr_b32 v[8:9], v6 offset1:1
	ds_load_b32 v7, v6 offset:68
	ds_load_b32 v10, v1
	s_wait_dscnt 0x2
	v_subrev_nc_u32_e32 v9, s25, v9
	s_wait_dscnt 0x1
	v_subrev_nc_u32_e32 v7, s25, v7
	s_wait_dscnt 0x0
	v_add_nc_u32_e32 v8, v10, v8
	s_delay_alu instid0(VALU_DEP_1)
	v_max3_i32 v7, v8, v7, v9
	ds_store_b32 v6, v7 offset:72
.LBB1_4:
	s_or_b32 exec_lo, exec_lo, s0
	v_cmp_gt_u32_e64 s0, 2, v0
	s_wait_dscnt 0x0
	s_barrier_signal -1
	s_barrier_wait -1
	s_and_saveexec_b32 s1, s0
	s_cbranch_execz .LBB1_6
; %bb.5:
	v_sub_nc_u32_e32 v7, 1, v0
	s_delay_alu instid0(VALU_DEP_1) | instskip(SKIP_1) | instid1(VALU_DEP_2)
	v_mul_u32_u24_e32 v8, 17, v7
	v_lshl_add_u32 v7, v7, 6, v1
	v_lshl_add_u32 v10, v8, 2, v6
	ds_load_b32 v7, v7
	ds_load_2addr_b32 v[8:9], v10 offset1:1
	ds_load_b32 v11, v10 offset:68
	s_wait_dscnt 0x1
	v_add_nc_u32_e32 v7, v7, v8
	s_wait_dscnt 0x0
	v_subrev_nc_u32_e32 v8, s25, v11
	v_subrev_nc_u32_e32 v9, s25, v9
	s_delay_alu instid0(VALU_DEP_1)
	v_max3_i32 v7, v7, v8, v9
	ds_store_b32 v10, v7 offset:72
.LBB1_6:
	s_or_b32 exec_lo, exec_lo, s1
	v_cmp_gt_u32_e64 s1, 3, v0
	s_wait_dscnt 0x0
	s_barrier_signal -1
	s_barrier_wait -1
	s_and_saveexec_b32 s2, s1
	s_cbranch_execz .LBB1_8
; %bb.7:
	v_sub_nc_u32_e32 v7, 2, v0
	s_delay_alu instid0(VALU_DEP_1) | instskip(SKIP_1) | instid1(VALU_DEP_2)
	v_mul_u32_u24_e32 v8, 17, v7
	v_lshl_add_u32 v7, v7, 6, v1
	v_lshl_add_u32 v10, v8, 2, v6
	ds_load_b32 v7, v7
	ds_load_2addr_b32 v[8:9], v10 offset1:1
	ds_load_b32 v11, v10 offset:68
	s_wait_dscnt 0x1
	v_add_nc_u32_e32 v7, v7, v8
	s_wait_dscnt 0x0
	v_subrev_nc_u32_e32 v8, s25, v11
	v_subrev_nc_u32_e32 v9, s25, v9
	s_delay_alu instid0(VALU_DEP_1)
	v_max3_i32 v7, v7, v8, v9
	ds_store_b32 v10, v7 offset:72
.LBB1_8:
	;; [unrolled: 25-line block ×14, first 2 shown]
	s_or_b32 exec_lo, exec_lo, s24
	v_sub_co_u32 v8, s24, 15, v0
	s_xor_b32 s24, s24, -1
	s_wait_dscnt 0x0
	s_barrier_signal -1
	v_mul_i32_i24_e32 v7, 17, v8
	v_lshlrev_b32_e32 v9, 6, v8
	s_barrier_wait -1
	s_and_saveexec_b32 s33, s24
	s_delay_alu instid0(SALU_CYCLE_1)
	s_xor_b32 s24, exec_lo, s33
	s_cbranch_execz .LBB1_34
; %bb.33:
	v_lshlrev_b32_e32 v9, 6, v8
	v_lshl_add_u32 v8, v7, 2, v6
	s_delay_alu instid0(VALU_DEP_2)
	v_add_nc_u32_e32 v1, v1, v9
	ds_load_2addr_b32 v[10:11], v8 offset1:1
	ds_load_b32 v1, v1
	ds_load_b32 v12, v8 offset:68
	s_wait_dscnt 0x2
	v_subrev_nc_u32_e32 v11, s25, v11
	s_wait_dscnt 0x1
	v_add_nc_u32_e32 v1, v1, v10
	s_wait_dscnt 0x0
	v_subrev_nc_u32_e32 v10, s25, v12
	s_delay_alu instid0(VALU_DEP_1)
	v_max3_i32 v1, v1, v10, v11
	ds_store_b32 v8, v1 offset:72
.LBB1_34:
	s_and_not1_saveexec_b32 s24, s24
	s_delay_alu instid0(SALU_CYCLE_1) | instskip(SKIP_4) | instid1(VALU_DEP_2)
	s_or_b32 exec_lo, exec_lo, s24
	v_dual_sub_nc_u32 v0, 16, v0 :: v_dual_lshlrev_b32 v8, 2, v7
	v_add_nc_u32_e32 v9, 0x490, v9
	s_wait_dscnt 0x0
	s_barrier_signal -1
	v_mul_i32_i24_e32 v7, 0x44, v0
	s_barrier_wait -1
	s_and_saveexec_b32 s24, s13
	s_cbranch_execz .LBB1_36
; %bb.35:
	v_dual_add_nc_u32 v0, v8, v6 :: v_dual_add_nc_u32 v10, v9, v6
	v_add_nc_u32_e32 v11, v7, v6
	ds_load_2addr_b32 v[0:1], v0 offset0:1 offset1:2
	ds_load_b32 v10, v10 offset:4
	ds_load_b32 v12, v11 offset:4
	s_wait_dscnt 0x2
	v_subrev_nc_u32_e32 v1, s25, v1
	s_wait_dscnt 0x1
	v_add_nc_u32_e32 v0, v10, v0
	s_wait_dscnt 0x0
	v_subrev_nc_u32_e32 v10, s25, v12
	s_delay_alu instid0(VALU_DEP_1)
	v_max3_i32 v0, v0, v10, v1
	ds_store_b32 v11, v0 offset:8
.LBB1_36:
	s_or_b32 exec_lo, exec_lo, s24
	s_wait_dscnt 0x0
	s_barrier_signal -1
	s_barrier_wait -1
	s_and_saveexec_b32 s13, s12
	s_cbranch_execz .LBB1_38
; %bb.37:
	v_dual_add_nc_u32 v0, v8, v6 :: v_dual_add_nc_u32 v10, v9, v6
	v_add_nc_u32_e32 v11, v7, v6
	ds_load_2addr_b32 v[0:1], v0 offset0:2 offset1:3
	ds_load_b32 v10, v10 offset:8
	ds_load_b32 v12, v11 offset:8
	s_wait_dscnt 0x2
	v_subrev_nc_u32_e32 v1, s25, v1
	s_wait_dscnt 0x1
	v_add_nc_u32_e32 v0, v10, v0
	s_wait_dscnt 0x0
	v_subrev_nc_u32_e32 v10, s25, v12
	s_delay_alu instid0(VALU_DEP_1)
	v_max3_i32 v0, v0, v10, v1
	ds_store_b32 v11, v0 offset:12
.LBB1_38:
	s_or_b32 exec_lo, exec_lo, s13
	s_wait_dscnt 0x0
	s_barrier_signal -1
	;; [unrolled: 22-line block ×13, first 2 shown]
	s_barrier_wait -1
	s_and_saveexec_b32 s1, s0
	s_cbranch_execz .LBB1_62
; %bb.61:
	v_dual_add_nc_u32 v0, v8, v6 :: v_dual_add_nc_u32 v10, v9, v6
	v_add_nc_u32_e32 v11, v7, v6
	ds_load_2addr_b32 v[0:1], v0 offset0:14 offset1:15
	ds_load_b32 v10, v10 offset:56
	ds_load_b32 v12, v11 offset:56
	s_wait_dscnt 0x2
	v_subrev_nc_u32_e32 v1, s25, v1
	s_wait_dscnt 0x1
	v_add_nc_u32_e32 v0, v10, v0
	s_wait_dscnt 0x0
	v_subrev_nc_u32_e32 v10, s25, v12
	s_delay_alu instid0(VALU_DEP_1)
	v_max3_i32 v0, v0, v10, v1
	ds_store_b32 v11, v0 offset:60
.LBB1_62:
	s_or_b32 exec_lo, exec_lo, s1
	v_lshl_add_u64 v[0:1], v[4:5], 2, s[16:17]
	s_wait_dscnt 0x0
	s_barrier_signal -1
	s_barrier_wait -1
	s_and_saveexec_b32 s0, vcc_lo
	s_cbranch_execz .LBB1_64
; %bb.63:
	ds_load_2addr_b32 v[4:5], v8 offset0:15 offset1:16
	ds_load_b32 v8, v9 offset:60
	ds_load_b32 v9, v7 offset:60
	s_wait_dscnt 0x2
	v_subrev_nc_u32_e32 v5, s25, v5
	s_wait_dscnt 0x1
	v_add_nc_u32_e32 v4, v8, v4
	s_wait_dscnt 0x0
	v_subrev_nc_u32_e32 v8, s25, v9
	s_delay_alu instid0(VALU_DEP_1)
	v_max3_i32 v4, v4, v8, v5
	ds_store_b32 v7, v4 offset:64
.LBB1_64:
	s_or_b32 exec_lo, exec_lo, s0
	s_wait_dscnt 0x0
	s_barrier_signal -1
	s_barrier_wait -1
	ds_load_2addr_b32 v[4:5], v6 offset0:18 offset1:35
	ds_load_2addr_b32 v[20:21], v6 offset0:52 offset1:69
	s_lshl_b64 s[0:1], s[14:15], 2
	ds_load_2addr_b32 v[28:29], v6 offset0:86 offset1:103
	v_add_nc_u64_e32 v[0:1], s[0:1], v[0:1]
	v_add_nc_u64_e32 v[8:9], s[20:21], v[2:3]
	;; [unrolled: 1-line block ×4, first 2 shown]
	ds_load_2addr_b32 v[40:41], v6 offset0:154 offset1:171
	v_add_nc_u64_e32 v[14:15], s[30:31], v[2:3]
	v_add_nc_u64_e32 v[16:17], s[34:35], v[2:3]
	;; [unrolled: 1-line block ×3, first 2 shown]
	v_lshl_add_u64 v[8:9], v[8:9], 2, s[16:17]
	v_lshl_add_u64 v[10:11], v[10:11], 2, s[16:17]
	v_add_nc_u64_e32 v[18:19], s[36:37], v[2:3]
	v_add_nc_u64_e32 v[22:23], s[18:19], v[2:3]
	;; [unrolled: 1-line block ×6, first 2 shown]
	s_wait_dscnt 0x3
	global_store_b32 v[0:1], v4, off offset:4
	s_wait_xcnt 0x0
	ds_load_2addr_b32 v[0:1], v6 offset0:120 offset1:137
	global_store_b32 v[36:37], v5, off offset:4
	s_wait_dscnt 0x3
	global_store_b32 v[8:9], v20, off offset:4
	s_wait_xcnt 0x0
	v_lshl_add_u64 v[8:9], v[12:13], 2, s[16:17]
	v_add_nc_u32_e32 v20, 0x400, v6
	ds_load_2addr_b32 v[4:5], v6 offset0:188 offset1:205
	ds_load_2addr_b32 v[6:7], v6 offset0:222 offset1:239
	global_store_b32 v[10:11], v21, off offset:4
	s_wait_dscnt 0x4
	global_store_b32 v[8:9], v28, off offset:4
	s_wait_xcnt 0x0
	ds_load_2addr_b32 v[8:9], v20 offset1:17
	v_lshl_add_u64 v[12:13], v[14:15], 2, s[16:17]
	v_add_nc_u64_e32 v[34:35], s[46:47], v[2:3]
	v_lshl_add_u64 v[10:11], v[16:17], 2, s[16:17]
	v_add_nc_u64_e32 v[38:39], s[22:23], v[2:3]
	v_add_nc_u64_e32 v[2:3], s[48:49], v[2:3]
	global_store_b32 v[12:13], v29, off offset:4
	s_wait_xcnt 0x0
	v_lshl_add_u64 v[12:13], v[18:19], 2, s[16:17]
	v_lshl_add_u64 v[14:15], v[22:23], 2, s[16:17]
	;; [unrolled: 1-line block ×4, first 2 shown]
	s_wait_dscnt 0x3
	s_clause 0x3
	global_store_b32 v[10:11], v0, off offset:4
	global_store_b32 v[12:13], v1, off offset:4
	;; [unrolled: 1-line block ×4, first 2 shown]
	s_wait_dscnt 0x2
	global_store_b32 v[18:19], v4, off offset:4
	s_wait_xcnt 0x3
	v_lshl_add_u64 v[0:1], v[30:31], 2, s[16:17]
	v_lshl_add_u64 v[10:11], v[32:33], 2, s[16:17]
	;; [unrolled: 1-line block ×3, first 2 shown]
	s_wait_xcnt 0x2
	v_lshl_add_u64 v[14:15], v[38:39], 2, s[16:17]
	v_lshl_add_u64 v[2:3], v[2:3], 2, s[16:17]
	global_store_b32 v[0:1], v5, off offset:4
	s_wait_dscnt 0x1
	s_clause 0x1
	global_store_b32 v[10:11], v6, off offset:4
	global_store_b32 v[12:13], v7, off offset:4
	s_wait_dscnt 0x0
	s_clause 0x1
	global_store_b32 v[14:15], v8, off offset:4
	global_store_b32 v[2:3], v9, off offset:4
	s_endpgm
	.section	.rodata,"a",@progbits
	.p2align	6, 0x0
	.amdhsa_kernel _Z7kernel2PiPKiiiiiii
		.amdhsa_group_segment_fixed_size 2192
		.amdhsa_private_segment_fixed_size 0
		.amdhsa_kernarg_size 40
		.amdhsa_user_sgpr_count 2
		.amdhsa_user_sgpr_dispatch_ptr 0
		.amdhsa_user_sgpr_queue_ptr 0
		.amdhsa_user_sgpr_kernarg_segment_ptr 1
		.amdhsa_user_sgpr_dispatch_id 0
		.amdhsa_user_sgpr_kernarg_preload_length 0
		.amdhsa_user_sgpr_kernarg_preload_offset 0
		.amdhsa_user_sgpr_private_segment_size 0
		.amdhsa_wavefront_size32 1
		.amdhsa_uses_dynamic_stack 0
		.amdhsa_enable_private_segment 0
		.amdhsa_system_sgpr_workgroup_id_x 1
		.amdhsa_system_sgpr_workgroup_id_y 0
		.amdhsa_system_sgpr_workgroup_id_z 0
		.amdhsa_system_sgpr_workgroup_info 0
		.amdhsa_system_vgpr_workitem_id 0
		.amdhsa_next_free_vgpr 42
		.amdhsa_next_free_sgpr 50
		.amdhsa_named_barrier_count 0
		.amdhsa_reserve_vcc 1
		.amdhsa_float_round_mode_32 0
		.amdhsa_float_round_mode_16_64 0
		.amdhsa_float_denorm_mode_32 3
		.amdhsa_float_denorm_mode_16_64 3
		.amdhsa_fp16_overflow 0
		.amdhsa_memory_ordered 1
		.amdhsa_forward_progress 1
		.amdhsa_inst_pref_size 39
		.amdhsa_round_robin_scheduling 0
		.amdhsa_exception_fp_ieee_invalid_op 0
		.amdhsa_exception_fp_denorm_src 0
		.amdhsa_exception_fp_ieee_div_zero 0
		.amdhsa_exception_fp_ieee_overflow 0
		.amdhsa_exception_fp_ieee_underflow 0
		.amdhsa_exception_fp_ieee_inexact 0
		.amdhsa_exception_int_div_zero 0
	.end_amdhsa_kernel
	.text
.Lfunc_end1:
	.size	_Z7kernel2PiPKiiiiiii, .Lfunc_end1-_Z7kernel2PiPKiiiiiii
                                        ; -- End function
	.set _Z7kernel2PiPKiiiiiii.num_vgpr, 42
	.set _Z7kernel2PiPKiiiiiii.num_agpr, 0
	.set _Z7kernel2PiPKiiiiiii.numbered_sgpr, 50
	.set _Z7kernel2PiPKiiiiiii.num_named_barrier, 0
	.set _Z7kernel2PiPKiiiiiii.private_seg_size, 0
	.set _Z7kernel2PiPKiiiiiii.uses_vcc, 1
	.set _Z7kernel2PiPKiiiiiii.uses_flat_scratch, 0
	.set _Z7kernel2PiPKiiiiiii.has_dyn_sized_stack, 0
	.set _Z7kernel2PiPKiiiiiii.has_recursion, 0
	.set _Z7kernel2PiPKiiiiiii.has_indirect_call, 0
	.section	.AMDGPU.csdata,"",@progbits
; Kernel info:
; codeLenInByte = 4992
; TotalNumSgprs: 52
; NumVgprs: 42
; ScratchSize: 0
; MemoryBound: 0
; FloatMode: 240
; IeeeMode: 1
; LDSByteSize: 2192 bytes/workgroup (compile time only)
; SGPRBlocks: 0
; VGPRBlocks: 2
; NumSGPRsForWavesPerEU: 52
; NumVGPRsForWavesPerEU: 42
; NamedBarCnt: 0
; Occupancy: 16
; WaveLimiterHint : 0
; COMPUTE_PGM_RSRC2:SCRATCH_EN: 0
; COMPUTE_PGM_RSRC2:USER_SGPR: 2
; COMPUTE_PGM_RSRC2:TRAP_HANDLER: 0
; COMPUTE_PGM_RSRC2:TGID_X_EN: 1
; COMPUTE_PGM_RSRC2:TGID_Y_EN: 0
; COMPUTE_PGM_RSRC2:TGID_Z_EN: 0
; COMPUTE_PGM_RSRC2:TIDIG_COMP_CNT: 0
	.text
	.p2alignl 7, 3214868480
	.fill 96, 4, 3214868480
	.section	.AMDGPU.gpr_maximums,"",@progbits
	.set amdgpu.max_num_vgpr, 0
	.set amdgpu.max_num_agpr, 0
	.set amdgpu.max_num_sgpr, 0
	.text
	.type	__hip_cuid_35b683a71194963e,@object ; @__hip_cuid_35b683a71194963e
	.section	.bss,"aw",@nobits
	.globl	__hip_cuid_35b683a71194963e
__hip_cuid_35b683a71194963e:
	.byte	0                               ; 0x0
	.size	__hip_cuid_35b683a71194963e, 1

	.ident	"AMD clang version 22.0.0git (https://github.com/RadeonOpenCompute/llvm-project roc-7.2.4 26084 f58b06dce1f9c15707c5f808fd002e18c2accf7e)"
	.section	".note.GNU-stack","",@progbits
	.addrsig
	.addrsig_sym __hip_cuid_35b683a71194963e
	.amdgpu_metadata
---
amdhsa.kernels:
  - .args:
      - .address_space:  global
        .offset:         0
        .size:           8
        .value_kind:     global_buffer
      - .actual_access:  read_only
        .address_space:  global
        .offset:         8
        .size:           8
        .value_kind:     global_buffer
      - .offset:         16
        .size:           4
        .value_kind:     by_value
      - .offset:         20
        .size:           4
        .value_kind:     by_value
      - .offset:         24
        .size:           4
        .value_kind:     by_value
      - .offset:         28
        .size:           4
        .value_kind:     by_value
      - .offset:         32
        .size:           4
        .value_kind:     by_value
    .group_segment_fixed_size: 2192
    .kernarg_segment_align: 8
    .kernarg_segment_size: 36
    .language:       OpenCL C
    .language_version:
      - 2
      - 0
    .max_flat_workgroup_size: 1024
    .name:           _Z7kernel1PiPKiiiiii
    .private_segment_fixed_size: 0
    .sgpr_count:     52
    .sgpr_spill_count: 0
    .symbol:         _Z7kernel1PiPKiiiiii.kd
    .uniform_work_group_size: 1
    .uses_dynamic_stack: false
    .vgpr_count:     42
    .vgpr_spill_count: 0
    .wavefront_size: 32
  - .args:
      - .address_space:  global
        .offset:         0
        .size:           8
        .value_kind:     global_buffer
      - .actual_access:  read_only
        .address_space:  global
        .offset:         8
        .size:           8
        .value_kind:     global_buffer
      - .offset:         16
        .size:           4
        .value_kind:     by_value
      - .offset:         20
        .size:           4
        .value_kind:     by_value
      - .offset:         24
        .size:           4
        .value_kind:     by_value
      - .offset:         28
        .size:           4
        .value_kind:     by_value
      - .offset:         32
        .size:           4
        .value_kind:     by_value
      - .offset:         36
        .size:           4
        .value_kind:     by_value
    .group_segment_fixed_size: 2192
    .kernarg_segment_align: 8
    .kernarg_segment_size: 40
    .language:       OpenCL C
    .language_version:
      - 2
      - 0
    .max_flat_workgroup_size: 1024
    .name:           _Z7kernel2PiPKiiiiiii
    .private_segment_fixed_size: 0
    .sgpr_count:     52
    .sgpr_spill_count: 0
    .symbol:         _Z7kernel2PiPKiiiiiii.kd
    .uniform_work_group_size: 1
    .uses_dynamic_stack: false
    .vgpr_count:     42
    .vgpr_spill_count: 0
    .wavefront_size: 32
amdhsa.target:   amdgcn-amd-amdhsa--gfx1250
amdhsa.version:
  - 1
  - 2
...

	.end_amdgpu_metadata
